;; amdgpu-corpus repo=ROCm/rocFFT kind=compiled arch=gfx906 opt=O3
	.text
	.amdgcn_target "amdgcn-amd-amdhsa--gfx906"
	.amdhsa_code_object_version 6
	.protected	fft_rtc_back_len728_factors_13_7_8_wgs_104_tpt_104_halfLds_dp_ip_CI_unitstride_sbrr_R2C_dirReg ; -- Begin function fft_rtc_back_len728_factors_13_7_8_wgs_104_tpt_104_halfLds_dp_ip_CI_unitstride_sbrr_R2C_dirReg
	.globl	fft_rtc_back_len728_factors_13_7_8_wgs_104_tpt_104_halfLds_dp_ip_CI_unitstride_sbrr_R2C_dirReg
	.p2align	8
	.type	fft_rtc_back_len728_factors_13_7_8_wgs_104_tpt_104_halfLds_dp_ip_CI_unitstride_sbrr_R2C_dirReg,@function
fft_rtc_back_len728_factors_13_7_8_wgs_104_tpt_104_halfLds_dp_ip_CI_unitstride_sbrr_R2C_dirReg: ; @fft_rtc_back_len728_factors_13_7_8_wgs_104_tpt_104_halfLds_dp_ip_CI_unitstride_sbrr_R2C_dirReg
; %bb.0:
	s_load_dwordx2 s[2:3], s[4:5], 0x50
	s_load_dwordx4 s[8:11], s[4:5], 0x0
	s_load_dwordx2 s[12:13], s[4:5], 0x18
	v_mul_u32_u24_e32 v1, 0x277, v0
	v_add_u32_sdwa v5, s6, v1 dst_sel:DWORD dst_unused:UNUSED_PAD src0_sel:DWORD src1_sel:WORD_1
	v_mov_b32_e32 v3, 0
	s_waitcnt lgkmcnt(0)
	v_cmp_lt_u64_e64 s[0:1], s[10:11], 2
	v_mov_b32_e32 v1, 0
	v_mov_b32_e32 v6, v3
	s_and_b64 vcc, exec, s[0:1]
	v_mov_b32_e32 v2, 0
	s_cbranch_vccnz .LBB0_8
; %bb.1:
	s_load_dwordx2 s[0:1], s[4:5], 0x10
	s_add_u32 s6, s12, 8
	s_addc_u32 s7, s13, 0
	v_mov_b32_e32 v1, 0
	v_mov_b32_e32 v2, 0
	s_waitcnt lgkmcnt(0)
	s_add_u32 s14, s0, 8
	s_addc_u32 s15, s1, 0
	s_mov_b64 s[16:17], 1
.LBB0_2:                                ; =>This Inner Loop Header: Depth=1
	s_load_dwordx2 s[18:19], s[14:15], 0x0
                                        ; implicit-def: $vgpr7_vgpr8
	s_waitcnt lgkmcnt(0)
	v_or_b32_e32 v4, s19, v6
	v_cmp_ne_u64_e32 vcc, 0, v[3:4]
	s_and_saveexec_b64 s[0:1], vcc
	s_xor_b64 s[20:21], exec, s[0:1]
	s_cbranch_execz .LBB0_4
; %bb.3:                                ;   in Loop: Header=BB0_2 Depth=1
	v_cvt_f32_u32_e32 v4, s18
	v_cvt_f32_u32_e32 v7, s19
	s_sub_u32 s0, 0, s18
	s_subb_u32 s1, 0, s19
	v_mac_f32_e32 v4, 0x4f800000, v7
	v_rcp_f32_e32 v4, v4
	v_mul_f32_e32 v4, 0x5f7ffffc, v4
	v_mul_f32_e32 v7, 0x2f800000, v4
	v_trunc_f32_e32 v7, v7
	v_mac_f32_e32 v4, 0xcf800000, v7
	v_cvt_u32_f32_e32 v7, v7
	v_cvt_u32_f32_e32 v4, v4
	v_mul_lo_u32 v8, s0, v7
	v_mul_hi_u32 v9, s0, v4
	v_mul_lo_u32 v11, s1, v4
	v_mul_lo_u32 v10, s0, v4
	v_add_u32_e32 v8, v9, v8
	v_add_u32_e32 v8, v8, v11
	v_mul_hi_u32 v9, v4, v10
	v_mul_lo_u32 v11, v4, v8
	v_mul_hi_u32 v13, v4, v8
	v_mul_hi_u32 v12, v7, v10
	v_mul_lo_u32 v10, v7, v10
	v_mul_hi_u32 v14, v7, v8
	v_add_co_u32_e32 v9, vcc, v9, v11
	v_addc_co_u32_e32 v11, vcc, 0, v13, vcc
	v_mul_lo_u32 v8, v7, v8
	v_add_co_u32_e32 v9, vcc, v9, v10
	v_addc_co_u32_e32 v9, vcc, v11, v12, vcc
	v_addc_co_u32_e32 v10, vcc, 0, v14, vcc
	v_add_co_u32_e32 v8, vcc, v9, v8
	v_addc_co_u32_e32 v9, vcc, 0, v10, vcc
	v_add_co_u32_e32 v4, vcc, v4, v8
	v_addc_co_u32_e32 v7, vcc, v7, v9, vcc
	v_mul_lo_u32 v8, s0, v7
	v_mul_hi_u32 v9, s0, v4
	v_mul_lo_u32 v10, s1, v4
	v_mul_lo_u32 v11, s0, v4
	v_add_u32_e32 v8, v9, v8
	v_add_u32_e32 v8, v8, v10
	v_mul_lo_u32 v12, v4, v8
	v_mul_hi_u32 v13, v4, v11
	v_mul_hi_u32 v14, v4, v8
	;; [unrolled: 1-line block ×3, first 2 shown]
	v_mul_lo_u32 v11, v7, v11
	v_mul_hi_u32 v9, v7, v8
	v_add_co_u32_e32 v12, vcc, v13, v12
	v_addc_co_u32_e32 v13, vcc, 0, v14, vcc
	v_mul_lo_u32 v8, v7, v8
	v_add_co_u32_e32 v11, vcc, v12, v11
	v_addc_co_u32_e32 v10, vcc, v13, v10, vcc
	v_addc_co_u32_e32 v9, vcc, 0, v9, vcc
	v_add_co_u32_e32 v8, vcc, v10, v8
	v_addc_co_u32_e32 v9, vcc, 0, v9, vcc
	v_add_co_u32_e32 v4, vcc, v4, v8
	v_addc_co_u32_e32 v9, vcc, v7, v9, vcc
	v_mad_u64_u32 v[7:8], s[0:1], v5, v9, 0
	v_mul_hi_u32 v10, v5, v4
	v_add_co_u32_e32 v11, vcc, v10, v7
	v_addc_co_u32_e32 v12, vcc, 0, v8, vcc
	v_mad_u64_u32 v[7:8], s[0:1], v6, v4, 0
	v_mad_u64_u32 v[9:10], s[0:1], v6, v9, 0
	v_add_co_u32_e32 v4, vcc, v11, v7
	v_addc_co_u32_e32 v4, vcc, v12, v8, vcc
	v_addc_co_u32_e32 v7, vcc, 0, v10, vcc
	v_add_co_u32_e32 v4, vcc, v4, v9
	v_addc_co_u32_e32 v9, vcc, 0, v7, vcc
	v_mul_lo_u32 v10, s19, v4
	v_mul_lo_u32 v11, s18, v9
	v_mad_u64_u32 v[7:8], s[0:1], s18, v4, 0
	v_add3_u32 v8, v8, v11, v10
	v_sub_u32_e32 v10, v6, v8
	v_mov_b32_e32 v11, s19
	v_sub_co_u32_e32 v7, vcc, v5, v7
	v_subb_co_u32_e64 v10, s[0:1], v10, v11, vcc
	v_subrev_co_u32_e64 v11, s[0:1], s18, v7
	v_subbrev_co_u32_e64 v10, s[0:1], 0, v10, s[0:1]
	v_cmp_le_u32_e64 s[0:1], s19, v10
	v_cndmask_b32_e64 v12, 0, -1, s[0:1]
	v_cmp_le_u32_e64 s[0:1], s18, v11
	v_cndmask_b32_e64 v11, 0, -1, s[0:1]
	v_cmp_eq_u32_e64 s[0:1], s19, v10
	v_cndmask_b32_e64 v10, v12, v11, s[0:1]
	v_add_co_u32_e64 v11, s[0:1], 2, v4
	v_addc_co_u32_e64 v12, s[0:1], 0, v9, s[0:1]
	v_add_co_u32_e64 v13, s[0:1], 1, v4
	v_addc_co_u32_e64 v14, s[0:1], 0, v9, s[0:1]
	v_subb_co_u32_e32 v8, vcc, v6, v8, vcc
	v_cmp_ne_u32_e64 s[0:1], 0, v10
	v_cmp_le_u32_e32 vcc, s19, v8
	v_cndmask_b32_e64 v10, v14, v12, s[0:1]
	v_cndmask_b32_e64 v12, 0, -1, vcc
	v_cmp_le_u32_e32 vcc, s18, v7
	v_cndmask_b32_e64 v7, 0, -1, vcc
	v_cmp_eq_u32_e32 vcc, s19, v8
	v_cndmask_b32_e32 v7, v12, v7, vcc
	v_cmp_ne_u32_e32 vcc, 0, v7
	v_cndmask_b32_e64 v7, v13, v11, s[0:1]
	v_cndmask_b32_e32 v8, v9, v10, vcc
	v_cndmask_b32_e32 v7, v4, v7, vcc
.LBB0_4:                                ;   in Loop: Header=BB0_2 Depth=1
	s_andn2_saveexec_b64 s[0:1], s[20:21]
	s_cbranch_execz .LBB0_6
; %bb.5:                                ;   in Loop: Header=BB0_2 Depth=1
	v_cvt_f32_u32_e32 v4, s18
	s_sub_i32 s20, 0, s18
	v_rcp_iflag_f32_e32 v4, v4
	v_mul_f32_e32 v4, 0x4f7ffffe, v4
	v_cvt_u32_f32_e32 v4, v4
	v_mul_lo_u32 v7, s20, v4
	v_mul_hi_u32 v7, v4, v7
	v_add_u32_e32 v4, v4, v7
	v_mul_hi_u32 v4, v5, v4
	v_mul_lo_u32 v7, v4, s18
	v_add_u32_e32 v8, 1, v4
	v_sub_u32_e32 v7, v5, v7
	v_subrev_u32_e32 v9, s18, v7
	v_cmp_le_u32_e32 vcc, s18, v7
	v_cndmask_b32_e32 v7, v7, v9, vcc
	v_cndmask_b32_e32 v4, v4, v8, vcc
	v_add_u32_e32 v8, 1, v4
	v_cmp_le_u32_e32 vcc, s18, v7
	v_cndmask_b32_e32 v7, v4, v8, vcc
	v_mov_b32_e32 v8, v3
.LBB0_6:                                ;   in Loop: Header=BB0_2 Depth=1
	s_or_b64 exec, exec, s[0:1]
	v_mul_lo_u32 v4, v8, s18
	v_mul_lo_u32 v11, v7, s19
	v_mad_u64_u32 v[9:10], s[0:1], v7, s18, 0
	s_load_dwordx2 s[0:1], s[6:7], 0x0
	s_add_u32 s16, s16, 1
	v_add3_u32 v4, v10, v11, v4
	v_sub_co_u32_e32 v5, vcc, v5, v9
	v_subb_co_u32_e32 v4, vcc, v6, v4, vcc
	s_waitcnt lgkmcnt(0)
	v_mul_lo_u32 v4, s0, v4
	v_mul_lo_u32 v6, s1, v5
	v_mad_u64_u32 v[1:2], s[0:1], s0, v5, v[1:2]
	s_addc_u32 s17, s17, 0
	s_add_u32 s6, s6, 8
	v_add3_u32 v2, v6, v2, v4
	v_mov_b32_e32 v4, s10
	v_mov_b32_e32 v5, s11
	s_addc_u32 s7, s7, 0
	v_cmp_ge_u64_e32 vcc, s[16:17], v[4:5]
	s_add_u32 s14, s14, 8
	s_addc_u32 s15, s15, 0
	s_cbranch_vccnz .LBB0_9
; %bb.7:                                ;   in Loop: Header=BB0_2 Depth=1
	v_mov_b32_e32 v5, v7
	v_mov_b32_e32 v6, v8
	s_branch .LBB0_2
.LBB0_8:
	v_mov_b32_e32 v8, v6
	v_mov_b32_e32 v7, v5
.LBB0_9:
	s_lshl_b64 s[0:1], s[10:11], 3
	s_add_u32 s0, s12, s0
	s_addc_u32 s1, s13, s1
	s_load_dwordx2 s[6:7], s[0:1], 0x0
	s_load_dwordx2 s[10:11], s[4:5], 0x20
	s_waitcnt lgkmcnt(0)
	v_mad_u64_u32 v[1:2], s[0:1], s6, v7, v[1:2]
	s_mov_b32 s0, 0x2762763
	v_mul_lo_u32 v3, s6, v8
	v_mul_lo_u32 v4, s7, v7
	v_mul_hi_u32 v5, v0, s0
	v_cmp_gt_u64_e64 s[0:1], s[10:11], v[7:8]
	v_add3_u32 v2, v4, v2, v3
	v_mul_u32_u24_e32 v3, 0x68, v5
	v_sub_u32_e32 v64, v0, v3
	v_lshlrev_b64 v[66:67], 4, v[1:2]
	v_lshl_add_u32 v132, v64, 4, 0
	s_and_saveexec_b64 s[4:5], s[0:1]
	s_cbranch_execz .LBB0_11
; %bb.10:
	v_mov_b32_e32 v65, 0
	v_mov_b32_e32 v0, s3
	v_add_co_u32_e32 v2, vcc, s2, v66
	v_addc_co_u32_e32 v3, vcc, v0, v67, vcc
	v_lshlrev_b64 v[0:1], 4, v[64:65]
	s_movk_i32 s6, 0x1000
	v_add_co_u32_e32 v16, vcc, v2, v0
	v_addc_co_u32_e32 v17, vcc, v3, v1, vcc
	v_add_co_u32_e32 v28, vcc, s6, v16
	v_addc_co_u32_e32 v29, vcc, 0, v17, vcc
	v_add_co_u32_e32 v30, vcc, 0x2000, v16
	global_load_dwordx4 v[0:3], v[16:17], off
	global_load_dwordx4 v[4:7], v[16:17], off offset:1664
	global_load_dwordx4 v[8:11], v[16:17], off offset:3328
	;; [unrolled: 1-line block ×3, first 2 shown]
	v_addc_co_u32_e32 v31, vcc, 0, v17, vcc
	global_load_dwordx4 v[16:19], v[28:29], off offset:2560
	global_load_dwordx4 v[20:23], v[30:31], off offset:128
	;; [unrolled: 1-line block ×3, first 2 shown]
	s_waitcnt vmcnt(6)
	ds_write_b128 v132, v[0:3]
	s_waitcnt vmcnt(5)
	ds_write_b128 v132, v[4:7] offset:1664
	s_waitcnt vmcnt(4)
	ds_write_b128 v132, v[8:11] offset:3328
	;; [unrolled: 2-line block ×6, first 2 shown]
.LBB0_11:
	s_or_b64 exec, exec, s[4:5]
	s_waitcnt lgkmcnt(0)
	s_barrier
	ds_read_b128 v[4:7], v132 offset:10752
	ds_read_b128 v[12:15], v132 offset:896
	ds_read_b128 v[16:19], v132
	ds_read_b128 v[8:11], v132 offset:9856
	ds_read_b128 v[24:27], v132 offset:1792
	s_mov_b32 s6, 0x4bc48dbf
	s_waitcnt lgkmcnt(3)
	v_add_f64 v[72:73], v[14:15], -v[6:7]
	s_mov_b32 s7, 0xbfcea1e5
	v_add_f64 v[68:69], v[12:13], v[4:5]
	s_waitcnt lgkmcnt(0)
	v_add_f64 v[78:79], v[26:27], -v[10:11]
	s_mov_b32 s4, 0x93053d00
	s_mov_b32 s5, 0xbfef11f4
	;; [unrolled: 1-line block ×4, first 2 shown]
	v_mul_f64 v[56:57], v[72:73], s[6:7]
	v_add_f64 v[70:71], v[14:15], v[6:7]
	v_add_f64 v[74:75], v[24:25], v[8:9]
	v_mul_f64 v[58:59], v[78:79], s[14:15]
	s_mov_b32 s10, 0xe00740e9
	s_mov_b32 s11, 0x3fec55a7
	ds_read_b128 v[28:31], v132 offset:2688
	ds_read_b128 v[20:23], v132 offset:8960
	v_add_f64 v[104:105], v[12:13], -v[4:5]
	v_fma_f64 v[0:1], v[68:69], s[4:5], -v[56:57]
	v_add_f64 v[76:77], v[26:27], v[10:11]
	v_mul_f64 v[118:119], v[70:71], s[4:5]
	v_fma_f64 v[36:37], v[74:75], s[10:11], -v[58:59]
	s_waitcnt lgkmcnt(0)
	v_add_f64 v[80:81], v[30:31], -v[22:23]
	v_add_f64 v[106:107], v[24:25], -v[8:9]
	v_add_f64 v[84:85], v[30:31], v[22:23]
	ds_read_b128 v[32:35], v132 offset:8064
	v_add_f64 v[0:1], v[16:17], v[0:1]
	v_mul_f64 v[62:63], v[76:77], s[10:11]
	v_fma_f64 v[2:3], v[104:105], s[6:7], v[118:119]
	s_mov_b32 s16, 0x24c2f84
	s_mov_b32 s17, 0xbfe5384d
	v_add_f64 v[82:83], v[28:29], v[20:21]
	v_mul_f64 v[60:61], v[80:81], s[16:17]
	s_mov_b32 s12, 0xd0032e0c
	v_add_f64 v[0:1], v[36:37], v[0:1]
	ds_read_b128 v[36:39], v132 offset:3584
	s_mov_b32 s13, 0xbfe7f3cc
	v_add_f64 v[2:3], v[18:19], v[2:3]
	v_fma_f64 v[40:41], v[106:107], s[14:15], v[62:63]
	v_add_f64 v[90:91], v[28:29], -v[20:21]
	s_waitcnt lgkmcnt(0)
	v_add_f64 v[96:97], v[38:39], -v[34:35]
	v_mul_f64 v[116:117], v[84:85], s[12:13]
	s_mov_b32 s36, 0x42a4c3d2
	s_mov_b32 s37, 0x3fea55e2
	v_fma_f64 v[48:49], v[82:83], s[12:13], -v[60:61]
	v_add_f64 v[88:89], v[38:39], v[34:35]
	v_add_f64 v[86:87], v[36:37], v[32:33]
	;; [unrolled: 1-line block ×3, first 2 shown]
	v_mul_f64 v[120:121], v[96:97], s[36:37]
	ds_read_b128 v[44:47], v132 offset:4480
	ds_read_b128 v[40:43], v132 offset:7168
	v_fma_f64 v[50:51], v[90:91], s[16:17], v[116:117]
	s_mov_b32 s20, 0x1ea71119
	s_mov_b32 s21, 0x3fe22d96
	v_add_f64 v[108:109], v[36:37], -v[32:33]
	v_mul_f64 v[122:123], v[88:89], s[20:21]
	v_add_f64 v[0:1], v[48:49], v[0:1]
	v_fma_f64 v[100:101], v[86:87], s[20:21], -v[120:121]
	s_waitcnt lgkmcnt(0)
	v_add_f64 v[98:99], v[46:47], -v[42:43]
	v_add_f64 v[94:95], v[46:47], v[42:43]
	v_add_f64 v[2:3], v[50:51], v[2:3]
	ds_read_b128 v[52:55], v132 offset:5376
	ds_read_b128 v[48:51], v132 offset:6272
	s_mov_b32 s22, 0xb2365da1
	s_mov_b32 s24, 0x2ef20147
	;; [unrolled: 1-line block ×4, first 2 shown]
	v_fma_f64 v[102:103], v[108:109], s[36:37], v[122:123]
	v_add_f64 v[92:93], v[44:45], v[40:41]
	v_mul_f64 v[124:125], v[98:99], s[24:25]
	v_add_f64 v[110:111], v[44:45], -v[40:41]
	v_mul_f64 v[126:127], v[94:95], s[22:23]
	v_add_f64 v[0:1], v[100:101], v[0:1]
	s_waitcnt lgkmcnt(0)
	v_add_f64 v[112:113], v[54:55], -v[50:51]
	v_add_f64 v[100:101], v[54:55], v[50:51]
	s_mov_b32 s26, 0xebaa3ed8
	s_mov_b32 s30, 0x66966769
	;; [unrolled: 1-line block ×4, first 2 shown]
	v_add_f64 v[2:3], v[102:103], v[2:3]
	v_fma_f64 v[133:134], v[92:93], s[22:23], -v[124:125]
	v_fma_f64 v[135:136], v[110:111], s[24:25], v[126:127]
	v_add_f64 v[102:103], v[52:53], v[48:49]
	v_mul_f64 v[128:129], v[112:113], s[30:31]
	v_add_f64 v[114:115], v[52:53], -v[48:49]
	v_mul_f64 v[130:131], v[100:101], s[26:27]
	v_cmp_gt_u32_e32 vcc, 56, v64
	v_add_f64 v[0:1], v[133:134], v[0:1]
	v_add_f64 v[2:3], v[135:136], v[2:3]
	s_barrier
	v_fma_f64 v[133:134], v[102:103], s[26:27], -v[128:129]
	v_fma_f64 v[135:136], v[114:115], s[30:31], v[130:131]
	v_add_f64 v[0:1], v[133:134], v[0:1]
	v_add_f64 v[2:3], v[135:136], v[2:3]
	s_and_saveexec_b64 s[18:19], vcc
	s_cbranch_execz .LBB0_13
; %bb.12:
	v_mul_f64 v[133:134], v[104:105], s[6:7]
	v_mul_f64 v[135:136], v[68:69], s[4:5]
	;; [unrolled: 1-line block ×8, first 2 shown]
	v_add_f64 v[118:119], v[118:119], -v[133:134]
	v_add_f64 v[56:57], v[135:136], v[56:57]
	v_add_f64 v[62:63], v[62:63], -v[139:140]
	v_add_f64 v[58:59], v[137:138], v[58:59]
	v_add_f64 v[116:117], v[116:117], -v[143:144]
	v_mul_f64 v[145:146], v[86:87], s[20:21]
	v_mul_f64 v[133:134], v[92:93], s[22:23]
	;; [unrolled: 1-line block ×3, first 2 shown]
	v_add_f64 v[118:119], v[18:19], v[118:119]
	v_add_f64 v[56:57], v[16:17], v[56:57]
	v_mul_f64 v[151:152], v[102:103], s[26:27]
	v_mul_f64 v[135:136], v[106:107], s[30:31]
	;; [unrolled: 1-line block ×3, first 2 shown]
	v_add_f64 v[122:123], v[122:123], -v[147:148]
	v_add_f64 v[60:61], v[141:142], v[60:61]
	s_mov_b32 s29, 0xbfea55e2
	v_add_f64 v[62:63], v[62:63], v[118:119]
	v_mul_f64 v[118:119], v[104:105], s[16:17]
	v_add_f64 v[56:57], v[58:59], v[56:57]
	s_mov_b32 s28, s36
	v_mul_f64 v[137:138], v[78:79], s[30:31]
	v_mul_f64 v[143:144], v[90:91], s[28:29]
	v_add_f64 v[126:127], v[126:127], -v[149:150]
	v_add_f64 v[120:121], v[145:146], v[120:121]
	v_add_f64 v[58:59], v[116:117], v[62:63]
	v_add_f64 v[62:63], v[130:131], -v[153:154]
	v_fma_f64 v[130:131], v[70:71], s[12:13], v[118:119]
	v_fma_f64 v[141:142], v[68:69], s[12:13], -v[139:140]
	v_add_f64 v[56:57], v[60:61], v[56:57]
	v_add_f64 v[60:61], v[151:152], v[128:129]
	s_mov_b32 s41, 0x3fcea1e5
	s_mov_b32 s40, s6
	v_add_f64 v[58:59], v[122:123], v[58:59]
	v_add_f64 v[122:123], v[133:134], v[124:125]
	v_fma_f64 v[124:125], v[76:77], s[26:27], v[135:136]
	v_add_f64 v[128:129], v[18:19], v[130:131]
	v_mul_f64 v[116:117], v[80:81], s[28:29]
	v_fma_f64 v[130:131], v[74:75], s[26:27], -v[137:138]
	v_add_f64 v[133:134], v[16:17], v[141:142]
	v_add_f64 v[56:57], v[120:121], v[56:57]
	;; [unrolled: 1-line block ×3, first 2 shown]
	v_mul_f64 v[120:121], v[108:109], s[40:41]
	v_fma_f64 v[118:119], v[70:71], s[12:13], -v[118:119]
	v_fma_f64 v[126:127], v[84:85], s[20:21], v[143:144]
	v_add_f64 v[124:125], v[124:125], v[128:129]
	v_mul_f64 v[128:129], v[96:97], s[40:41]
	v_fma_f64 v[141:142], v[82:83], s[20:21], -v[116:117]
	v_add_f64 v[130:131], v[130:131], v[133:134]
	v_mul_f64 v[133:134], v[110:111], s[14:15]
	v_fma_f64 v[135:136], v[76:77], s[26:27], -v[135:136]
	v_add_f64 v[118:119], v[18:19], v[118:119]
	v_fma_f64 v[145:146], v[88:89], s[4:5], v[120:121]
	v_add_f64 v[124:125], v[126:127], v[124:125]
	v_mul_f64 v[126:127], v[98:99], s[14:15]
	v_fma_f64 v[147:148], v[86:87], s[4:5], -v[128:129]
	v_add_f64 v[130:131], v[141:142], v[130:131]
	v_mul_f64 v[141:142], v[114:115], s[24:25]
	v_fma_f64 v[143:144], v[84:85], s[20:21], -v[143:144]
	v_add_f64 v[118:119], v[135:136], v[118:119]
	v_fma_f64 v[135:136], v[94:95], s[10:11], v[133:134]
	v_add_f64 v[124:125], v[145:146], v[124:125]
	v_mul_f64 v[145:146], v[112:113], s[24:25]
	v_fma_f64 v[149:150], v[92:93], s[10:11], -v[126:127]
	v_add_f64 v[130:131], v[147:148], v[130:131]
	v_add_f64 v[56:57], v[122:123], v[56:57]
	v_fma_f64 v[120:121], v[88:89], s[4:5], -v[120:121]
	v_add_f64 v[118:119], v[143:144], v[118:119]
	v_fma_f64 v[122:123], v[100:101], s[22:23], v[141:142]
	v_add_f64 v[124:125], v[135:136], v[124:125]
	v_fma_f64 v[135:136], v[68:69], s[12:13], v[139:140]
	v_fma_f64 v[139:140], v[102:103], s[22:23], -v[145:146]
	v_add_f64 v[130:131], v[149:150], v[130:131]
	v_add_f64 v[62:63], v[62:63], v[58:59]
	v_fma_f64 v[133:134], v[94:95], s[10:11], -v[133:134]
	v_add_f64 v[118:119], v[120:121], v[118:119]
	v_fma_f64 v[120:121], v[74:75], s[26:27], v[137:138]
	v_add_f64 v[58:59], v[122:123], v[124:125]
	v_add_f64 v[135:136], v[16:17], v[135:136]
	v_mul_f64 v[124:125], v[104:105], s[24:25]
	s_mov_b32 s39, 0x3fe5384d
	s_mov_b32 s38, s16
	v_add_f64 v[60:61], v[60:61], v[56:57]
	v_add_f64 v[56:57], v[139:140], v[130:131]
	;; [unrolled: 1-line block ×3, first 2 shown]
	v_fma_f64 v[116:117], v[82:83], s[20:21], v[116:117]
	v_mul_f64 v[130:131], v[72:73], s[24:25]
	v_add_f64 v[120:121], v[120:121], v[135:136]
	v_mul_f64 v[133:134], v[106:107], s[38:39]
	v_fma_f64 v[135:136], v[70:71], s[22:23], v[124:125]
	v_fma_f64 v[122:123], v[100:101], s[22:23], -v[141:142]
	v_mul_f64 v[137:138], v[78:79], s[38:39]
	s_mov_b32 s35, 0xbfefc445
	s_mov_b32 s34, s30
	v_fma_f64 v[139:140], v[68:69], s[22:23], -v[130:131]
	v_add_f64 v[116:117], v[116:117], v[120:121]
	v_mul_f64 v[120:121], v[90:91], s[14:15]
	v_fma_f64 v[141:142], v[76:77], s[12:13], v[133:134]
	v_add_f64 v[135:136], v[18:19], v[135:136]
	v_fma_f64 v[128:129], v[86:87], s[4:5], v[128:129]
	v_mul_f64 v[143:144], v[80:81], s[14:15]
	v_fma_f64 v[147:148], v[74:75], s[12:13], -v[137:138]
	v_add_f64 v[139:140], v[16:17], v[139:140]
	v_mul_f64 v[149:150], v[108:109], s[34:35]
	v_fma_f64 v[151:152], v[84:85], s[10:11], v[120:121]
	v_fma_f64 v[124:125], v[70:71], s[22:23], -v[124:125]
	v_add_f64 v[135:136], v[141:142], v[135:136]
	v_mul_f64 v[141:142], v[96:97], s[34:35]
	v_fma_f64 v[153:154], v[82:83], s[10:11], -v[143:144]
	v_add_f64 v[116:117], v[128:129], v[116:117]
	v_add_f64 v[139:140], v[147:148], v[139:140]
	v_mul_f64 v[128:129], v[110:111], s[40:41]
	v_fma_f64 v[147:148], v[88:89], s[26:27], v[149:150]
	v_fma_f64 v[126:127], v[92:93], s[10:11], v[126:127]
	v_add_f64 v[135:136], v[151:152], v[135:136]
	v_mul_f64 v[151:152], v[98:99], s[40:41]
	v_fma_f64 v[155:156], v[86:87], s[26:27], -v[141:142]
	v_fma_f64 v[133:134], v[76:77], s[12:13], -v[133:134]
	v_add_f64 v[139:140], v[153:154], v[139:140]
	v_mul_f64 v[153:154], v[114:115], s[36:37]
	v_add_f64 v[124:125], v[18:19], v[124:125]
	v_fma_f64 v[157:158], v[94:95], s[4:5], v[128:129]
	v_add_f64 v[135:136], v[147:148], v[135:136]
	v_mul_f64 v[147:148], v[112:113], s[36:37]
	v_fma_f64 v[159:160], v[92:93], s[4:5], -v[151:152]
	v_fma_f64 v[145:146], v[102:103], s[22:23], v[145:146]
	v_add_f64 v[139:140], v[155:156], v[139:140]
	v_add_f64 v[116:117], v[126:127], v[116:117]
	;; [unrolled: 1-line block ×3, first 2 shown]
	v_fma_f64 v[126:127], v[100:101], s[20:21], v[153:154]
	v_add_f64 v[133:134], v[157:158], v[135:136]
	v_fma_f64 v[120:121], v[84:85], s[10:11], -v[120:121]
	v_fma_f64 v[135:136], v[102:103], s[20:21], -v[147:148]
	v_add_f64 v[118:119], v[122:123], v[118:119]
	v_add_f64 v[139:140], v[159:160], v[139:140]
	;; [unrolled: 1-line block ×3, first 2 shown]
	v_mul_f64 v[145:146], v[104:105], s[34:35]
	v_fma_f64 v[149:150], v[88:89], s[26:27], -v[149:150]
	v_add_f64 v[122:123], v[126:127], v[133:134]
	v_fma_f64 v[126:127], v[68:69], s[22:23], v[130:131]
	v_add_f64 v[124:125], v[120:121], v[124:125]
	v_mul_f64 v[133:134], v[106:107], s[6:7]
	v_add_f64 v[120:121], v[135:136], v[139:140]
	v_fma_f64 v[137:138], v[74:75], s[12:13], v[137:138]
	v_fma_f64 v[135:136], v[70:71], s[26:27], v[145:146]
	s_mov_b32 s37, 0x3fedeba7
	s_mov_b32 s36, s24
	v_add_f64 v[126:127], v[16:17], v[126:127]
	v_fma_f64 v[130:131], v[100:101], s[20:21], -v[153:154]
	v_fma_f64 v[128:129], v[94:95], s[4:5], -v[128:129]
	v_add_f64 v[124:125], v[149:150], v[124:125]
	v_mul_f64 v[139:140], v[72:73], s[34:35]
	v_mul_f64 v[149:150], v[90:91], s[36:37]
	v_fma_f64 v[153:154], v[76:77], s[4:5], v[133:134]
	v_add_f64 v[135:136], v[18:19], v[135:136]
	v_fma_f64 v[143:144], v[82:83], s[10:11], v[143:144]
	v_add_f64 v[126:127], v[137:138], v[126:127]
	v_mul_f64 v[155:156], v[108:109], s[14:15]
	v_add_f64 v[124:125], v[128:129], v[124:125]
	v_mul_f64 v[128:129], v[78:79], s[6:7]
	v_fma_f64 v[137:138], v[68:69], s[26:27], -v[139:140]
	v_fma_f64 v[157:158], v[84:85], s[22:23], v[149:150]
	v_add_f64 v[135:136], v[153:154], v[135:136]
	v_fma_f64 v[141:142], v[86:87], s[26:27], v[141:142]
	v_add_f64 v[126:127], v[143:144], v[126:127]
	v_mul_f64 v[143:144], v[80:81], s[36:37]
	v_mul_f64 v[159:160], v[110:111], s[28:29]
	v_fma_f64 v[153:154], v[74:75], s[4:5], -v[128:129]
	v_add_f64 v[137:138], v[16:17], v[137:138]
	v_fma_f64 v[161:162], v[88:89], s[10:11], v[155:156]
	v_add_f64 v[135:136], v[157:158], v[135:136]
	v_fma_f64 v[151:152], v[92:93], s[4:5], v[151:152]
	v_add_f64 v[126:127], v[141:142], v[126:127]
	v_fma_f64 v[157:158], v[82:83], s[22:23], -v[143:144]
	v_fma_f64 v[163:164], v[94:95], s[20:21], v[159:160]
	v_fma_f64 v[147:148], v[102:103], s[20:21], v[147:148]
	v_add_f64 v[137:138], v[153:154], v[137:138]
	v_mul_f64 v[153:154], v[114:115], s[16:17]
	v_add_f64 v[135:136], v[161:162], v[135:136]
	v_fma_f64 v[145:146], v[70:71], s[26:27], -v[145:146]
	v_add_f64 v[151:152], v[151:152], v[126:127]
	v_mul_f64 v[141:142], v[96:97], s[14:15]
	v_fma_f64 v[133:134], v[76:77], s[4:5], -v[133:134]
	v_add_f64 v[126:127], v[130:131], v[124:125]
	v_add_f64 v[137:138], v[157:158], v[137:138]
	v_fma_f64 v[157:158], v[100:101], s[12:13], v[153:154]
	v_add_f64 v[135:136], v[163:164], v[135:136]
	v_add_f64 v[145:146], v[18:19], v[145:146]
	;; [unrolled: 1-line block ×3, first 2 shown]
	v_mul_f64 v[147:148], v[104:105], s[28:29]
	v_mul_f64 v[161:162], v[98:99], s[28:29]
	v_fma_f64 v[165:166], v[86:87], s[10:11], -v[141:142]
	v_fma_f64 v[139:140], v[68:69], s[26:27], v[139:140]
	v_fma_f64 v[151:152], v[88:89], s[10:11], -v[155:156]
	v_add_f64 v[130:131], v[157:158], v[135:136]
	v_fma_f64 v[135:136], v[84:85], s[22:23], -v[149:150]
	v_add_f64 v[133:134], v[133:134], v[145:146]
	v_fma_f64 v[149:150], v[100:101], s[12:13], -v[153:154]
	v_mul_f64 v[153:154], v[106:107], s[24:25]
	v_fma_f64 v[155:156], v[70:71], s[20:21], v[147:148]
	v_fma_f64 v[167:168], v[92:93], s[20:21], -v[161:162]
	v_add_f64 v[137:138], v[165:166], v[137:138]
	v_fma_f64 v[128:129], v[74:75], s[4:5], v[128:129]
	v_mul_f64 v[157:158], v[72:73], s[28:29]
	v_add_f64 v[133:134], v[135:136], v[133:134]
	v_fma_f64 v[135:136], v[94:95], s[20:21], -v[159:160]
	v_add_f64 v[139:140], v[16:17], v[139:140]
	v_mul_f64 v[159:160], v[90:91], s[6:7]
	v_fma_f64 v[165:166], v[76:77], s[22:23], v[153:154]
	v_add_f64 v[155:156], v[18:19], v[155:156]
	v_add_f64 v[14:15], v[18:19], v[14:15]
	;; [unrolled: 1-line block ×5, first 2 shown]
	v_fma_f64 v[143:144], v[82:83], s[22:23], v[143:144]
	v_mul_f64 v[151:152], v[78:79], s[24:25]
	v_fma_f64 v[167:168], v[68:69], s[20:21], -v[157:158]
	v_add_f64 v[128:129], v[128:129], v[139:140]
	v_mul_f64 v[169:170], v[108:109], s[38:39]
	v_fma_f64 v[139:140], v[84:85], s[4:5], v[159:160]
	v_add_f64 v[155:156], v[165:166], v[155:156]
	v_add_f64 v[14:15], v[14:15], v[26:27]
	;; [unrolled: 1-line block ×3, first 2 shown]
	v_fma_f64 v[171:172], v[74:75], s[22:23], -v[151:152]
	v_add_f64 v[167:168], v[16:17], v[167:168]
	v_add_f64 v[128:129], v[143:144], v[128:129]
	v_mul_f64 v[143:144], v[110:111], s[30:31]
	v_fma_f64 v[173:174], v[88:89], s[12:13], v[169:170]
	v_add_f64 v[139:140], v[139:140], v[155:156]
	v_add_f64 v[14:15], v[14:15], v[30:31]
	;; [unrolled: 1-line block ×3, first 2 shown]
	v_mul_f64 v[163:164], v[112:113], s[16:17]
	v_fma_f64 v[141:142], v[86:87], s[10:11], v[141:142]
	v_mul_f64 v[165:166], v[80:81], s[6:7]
	v_add_f64 v[167:168], v[171:172], v[167:168]
	v_fma_f64 v[171:172], v[94:95], s[26:27], v[143:144]
	v_add_f64 v[139:140], v[173:174], v[139:140]
	v_add_f64 v[14:15], v[14:15], v[38:39]
	;; [unrolled: 1-line block ×3, first 2 shown]
	v_fma_f64 v[145:146], v[102:103], s[12:13], -v[163:164]
	v_fma_f64 v[155:156], v[92:93], s[20:21], v[161:162]
	v_mul_f64 v[161:162], v[96:97], s[38:39]
	v_fma_f64 v[175:176], v[82:83], s[4:5], -v[165:166]
	v_add_f64 v[128:129], v[141:142], v[128:129]
	v_fma_f64 v[147:148], v[70:71], s[20:21], -v[147:148]
	v_mul_f64 v[141:142], v[114:115], s[14:15]
	v_add_f64 v[139:140], v[171:172], v[139:140]
	v_mul_f64 v[171:172], v[112:113], s[14:15]
	s_mov_b32 s15, 0xbfddbe06
	v_add_f64 v[14:15], v[14:15], v[46:47]
	v_add_f64 v[36:37], v[36:37], v[44:45]
	;; [unrolled: 1-line block ×3, first 2 shown]
	v_fma_f64 v[135:136], v[86:87], s[12:13], -v[161:162]
	v_add_f64 v[167:168], v[175:176], v[167:168]
	v_fma_f64 v[163:164], v[102:103], s[12:13], v[163:164]
	v_add_f64 v[155:156], v[155:156], v[128:129]
	v_add_f64 v[128:129], v[145:146], v[137:138]
	v_fma_f64 v[145:146], v[76:77], s[22:23], -v[153:154]
	v_add_f64 v[147:148], v[18:19], v[147:148]
	v_fma_f64 v[153:154], v[68:69], s[20:21], v[157:158]
	v_mul_f64 v[104:105], v[104:105], s[14:15]
	v_mul_f64 v[44:45], v[72:73], s[14:15]
	v_add_f64 v[14:15], v[14:15], v[54:55]
	v_add_f64 v[36:37], v[36:37], v[52:53]
	;; [unrolled: 1-line block ×5, first 2 shown]
	v_fma_f64 v[155:156], v[84:85], s[4:5], -v[159:160]
	v_add_f64 v[145:146], v[145:146], v[147:148]
	v_fma_f64 v[147:148], v[74:75], s[22:23], v[151:152]
	v_add_f64 v[151:152], v[16:17], v[153:154]
	v_mul_f64 v[106:107], v[106:107], s[28:29]
	v_fma_f64 v[157:158], v[70:71], s[10:11], v[104:105]
	v_fma_f64 v[70:71], v[70:71], s[10:11], -v[104:105]
	v_mul_f64 v[78:79], v[78:79], s[28:29]
	v_fma_f64 v[52:53], v[68:69], s[10:11], v[44:45]
	v_fma_f64 v[44:45], v[68:69], s[10:11], -v[44:45]
	v_add_f64 v[14:15], v[14:15], v[50:51]
	v_add_f64 v[36:37], v[36:37], v[48:49]
	v_fma_f64 v[153:154], v[88:89], s[12:13], -v[169:170]
	v_add_f64 v[145:146], v[155:156], v[145:146]
	v_fma_f64 v[155:156], v[82:83], s[4:5], v[165:166]
	v_add_f64 v[147:148], v[147:148], v[151:152]
	v_mul_f64 v[90:91], v[90:91], s[34:35]
	v_add_f64 v[157:158], v[18:19], v[157:158]
	v_mul_f64 v[54:55], v[80:81], s[34:35]
	v_fma_f64 v[68:69], v[76:77], s[20:21], -v[106:107]
	v_add_f64 v[18:19], v[18:19], v[70:71]
	v_fma_f64 v[70:71], v[74:75], s[20:21], v[78:79]
	v_add_f64 v[48:49], v[16:17], v[52:53]
	v_fma_f64 v[151:152], v[76:77], s[20:21], v[106:107]
	v_fma_f64 v[50:51], v[74:75], s[20:21], -v[78:79]
	v_add_f64 v[16:17], v[16:17], v[44:45]
	v_add_f64 v[14:15], v[14:15], v[42:43]
	;; [unrolled: 1-line block ×3, first 2 shown]
	v_mul_f64 v[173:174], v[98:99], s[30:31]
	v_add_f64 v[24:25], v[153:154], v[145:146]
	v_fma_f64 v[26:27], v[86:87], s[12:13], v[161:162]
	v_add_f64 v[145:146], v[155:156], v[147:148]
	v_mul_f64 v[108:109], v[108:109], s[24:25]
	v_mul_f64 v[96:97], v[96:97], s[24:25]
	v_fma_f64 v[44:45], v[84:85], s[26:27], -v[90:91]
	v_add_f64 v[18:19], v[68:69], v[18:19]
	v_fma_f64 v[52:53], v[82:83], s[26:27], v[54:55]
	v_add_f64 v[40:41], v[70:71], v[48:49]
	v_fma_f64 v[143:144], v[94:95], s[26:27], -v[143:144]
	v_fma_f64 v[147:148], v[84:85], s[26:27], v[90:91]
	v_add_f64 v[151:152], v[151:152], v[157:158]
	v_fma_f64 v[42:43], v[82:83], s[26:27], -v[54:55]
	v_add_f64 v[16:17], v[50:51], v[16:17]
	v_add_f64 v[14:15], v[14:15], v[34:35]
	;; [unrolled: 1-line block ×3, first 2 shown]
	v_fma_f64 v[28:29], v[92:93], s[26:27], v[173:174]
	v_add_f64 v[26:27], v[26:27], v[145:146]
	v_mul_f64 v[30:31], v[110:111], s[16:17]
	v_mul_f64 v[72:73], v[98:99], s[16:17]
	v_fma_f64 v[48:49], v[88:89], s[22:23], -v[108:109]
	v_add_f64 v[18:19], v[44:45], v[18:19]
	v_fma_f64 v[44:45], v[86:87], s[22:23], v[96:97]
	v_add_f64 v[34:35], v[52:53], v[40:41]
	v_add_f64 v[24:25], v[143:144], v[24:25]
	v_fma_f64 v[110:111], v[88:89], s[22:23], v[108:109]
	v_add_f64 v[143:144], v[147:148], v[151:152]
	v_fma_f64 v[36:37], v[86:87], s[22:23], -v[96:97]
	v_add_f64 v[16:17], v[42:43], v[16:17]
	v_add_f64 v[14:15], v[14:15], v[22:23]
	;; [unrolled: 1-line block ×4, first 2 shown]
	v_mul_f64 v[28:29], v[114:115], s[6:7]
	v_fma_f64 v[38:39], v[94:95], s[12:13], v[30:31]
	v_mul_f64 v[46:47], v[112:113], s[6:7]
	v_fma_f64 v[30:31], v[94:95], s[12:13], -v[30:31]
	v_add_f64 v[18:19], v[48:49], v[18:19]
	v_fma_f64 v[40:41], v[92:93], s[12:13], v[72:73]
	v_add_f64 v[22:23], v[44:45], v[34:35]
	v_fma_f64 v[175:176], v[100:101], s[10:11], v[141:142]
	v_fma_f64 v[141:142], v[100:101], s[10:11], -v[141:142]
	v_fma_f64 v[177:178], v[92:93], s[26:27], -v[173:174]
	v_add_f64 v[110:111], v[110:111], v[143:144]
	v_fma_f64 v[32:33], v[92:93], s[12:13], -v[72:73]
	v_add_f64 v[16:17], v[36:37], v[16:17]
	v_add_f64 v[10:11], v[14:15], v[10:11]
	;; [unrolled: 1-line block ×3, first 2 shown]
	v_fma_f64 v[34:35], v[100:101], s[4:5], -v[28:29]
	v_add_f64 v[18:19], v[30:31], v[18:19]
	v_fma_f64 v[30:31], v[102:103], s[4:5], v[46:47]
	v_add_f64 v[20:21], v[40:41], v[22:23]
	v_add_f64 v[12:13], v[141:142], v[24:25]
	v_fma_f64 v[24:25], v[102:103], s[10:11], v[171:172]
	v_fma_f64 v[137:138], v[102:103], s[10:11], -v[171:172]
	v_add_f64 v[149:150], v[177:178], v[167:168]
	v_fma_f64 v[22:23], v[100:101], s[4:5], v[28:29]
	v_add_f64 v[28:29], v[38:39], v[110:111]
	v_fma_f64 v[36:37], v[102:103], s[4:5], -v[46:47]
	v_add_f64 v[32:33], v[32:33], v[16:17]
	v_add_f64 v[16:17], v[10:11], v[6:7]
	;; [unrolled: 1-line block ×6, first 2 shown]
	s_movk_i32 s4, 0xc0
	v_mad_u32_u24 v4, v64, s4, v132
	v_add_f64 v[139:140], v[175:176], v[139:140]
	v_add_f64 v[137:138], v[137:138], v[149:150]
	;; [unrolled: 1-line block ×4, first 2 shown]
	ds_write_b128 v4, v[14:17]
	ds_write_b128 v4, v[6:9] offset:16
	ds_write_b128 v4, v[10:13] offset:32
	;; [unrolled: 1-line block ×12, first 2 shown]
.LBB0_13:
	s_or_b64 exec, exec, s[18:19]
	s_movk_i32 s4, 0x4f
	v_mul_lo_u16_sdwa v4, v64, s4 dst_sel:DWORD dst_unused:UNUSED_PAD src0_sel:BYTE_0 src1_sel:DWORD
	v_lshrrev_b16_e32 v56, 10, v4
	v_mul_lo_u16_e32 v4, 13, v56
	v_sub_u16_e32 v57, v64, v4
	v_mov_b32_e32 v4, 6
	v_mul_u32_u24_sdwa v4, v57, v4 dst_sel:DWORD dst_unused:UNUSED_PAD src0_sel:BYTE_0 src1_sel:DWORD
	v_lshlrev_b32_e32 v28, 4, v4
	s_waitcnt lgkmcnt(0)
	s_barrier
	global_load_dwordx4 v[4:7], v28, s[8:9]
	global_load_dwordx4 v[8:11], v28, s[8:9] offset:16
	global_load_dwordx4 v[12:15], v28, s[8:9] offset:32
	;; [unrolled: 1-line block ×5, first 2 shown]
	ds_read_b128 v[28:31], v132
	ds_read_b128 v[32:35], v132 offset:1664
	ds_read_b128 v[36:39], v132 offset:3328
	;; [unrolled: 1-line block ×6, first 2 shown]
	v_mov_b32_e32 v58, 4
	v_mul_u32_u24_e32 v56, 0x5b0, v56
	v_lshlrev_b32_sdwa v57, v58, v57 dst_sel:DWORD dst_unused:UNUSED_PAD src0_sel:DWORD src1_sel:BYTE_0
	v_add3_u32 v65, 0, v56, v57
	s_mov_b32 s6, 0x37e14327
	s_mov_b32 s4, 0x36b3c0b5
	;; [unrolled: 1-line block ×16, first 2 shown]
	s_waitcnt vmcnt(0) lgkmcnt(0)
	s_barrier
	v_mul_f64 v[56:57], v[34:35], v[6:7]
	v_mul_f64 v[6:7], v[32:33], v[6:7]
	;; [unrolled: 1-line block ×12, first 2 shown]
	v_fma_f64 v[32:33], v[32:33], v[4:5], v[56:57]
	v_fma_f64 v[4:5], v[34:35], v[4:5], -v[6:7]
	v_fma_f64 v[6:7], v[36:37], v[8:9], v[58:59]
	v_fma_f64 v[8:9], v[38:39], v[8:9], -v[10:11]
	;; [unrolled: 2-line block ×6, first 2 shown]
	v_add_f64 v[18:19], v[32:33], v[10:11]
	v_add_f64 v[34:35], v[4:5], v[20:21]
	v_add_f64 v[10:11], v[32:33], -v[10:11]
	v_add_f64 v[4:5], v[4:5], -v[20:21]
	v_add_f64 v[20:21], v[6:7], v[14:15]
	v_add_f64 v[32:33], v[8:9], v[24:25]
	v_add_f64 v[6:7], v[6:7], -v[14:15]
	v_add_f64 v[8:9], v[8:9], -v[24:25]
	;; [unrolled: 4-line block ×4, first 2 shown]
	v_add_f64 v[20:21], v[14:15], -v[20:21]
	v_add_f64 v[34:35], v[34:35], -v[24:25]
	v_add_f64 v[32:33], v[24:25], -v[32:33]
	v_add_f64 v[40:41], v[22:23], v[6:7]
	v_add_f64 v[42:43], v[12:13], v[8:9]
	v_add_f64 v[44:45], v[22:23], -v[6:7]
	v_add_f64 v[46:47], v[12:13], -v[8:9]
	;; [unrolled: 1-line block ×5, first 2 shown]
	v_add_f64 v[14:15], v[14:15], v[16:17]
	v_add_f64 v[16:17], v[24:25], v[26:27]
	v_add_f64 v[22:23], v[10:11], -v[22:23]
	v_add_f64 v[12:13], v[4:5], -v[12:13]
	v_add_f64 v[10:11], v[40:41], v[10:11]
	v_add_f64 v[24:25], v[42:43], v[4:5]
	v_mul_f64 v[26:27], v[34:35], s[6:7]
	v_mul_f64 v[34:35], v[20:21], s[4:5]
	;; [unrolled: 1-line block ×8, first 2 shown]
	v_add_f64 v[4:5], v[28:29], v[14:15]
	v_add_f64 v[6:7], v[30:31], v[16:17]
	v_fma_f64 v[28:29], v[32:33], s[4:5], v[26:27]
	v_fma_f64 v[30:31], v[36:37], s[16:17], -v[34:35]
	v_fma_f64 v[32:33], v[38:39], s[16:17], -v[40:41]
	s_mov_b32 s17, 0xbfe77f67
	v_fma_f64 v[34:35], v[22:23], s[18:19], v[42:43]
	v_fma_f64 v[40:41], v[12:13], s[18:19], v[44:45]
	s_mov_b32 s19, 0x3fd5d0dc
	v_fma_f64 v[20:21], v[20:21], s[4:5], v[18:19]
	v_fma_f64 v[42:43], v[48:49], s[10:11], -v[42:43]
	v_fma_f64 v[8:9], v[8:9], s[10:11], -v[44:45]
	;; [unrolled: 1-line block ×6, first 2 shown]
	v_fma_f64 v[14:15], v[14:15], s[12:13], v[4:5]
	v_fma_f64 v[16:17], v[16:17], s[12:13], v[6:7]
	;; [unrolled: 1-line block ×8, first 2 shown]
	v_add_f64 v[44:45], v[20:21], v[14:15]
	v_add_f64 v[46:47], v[28:29], v[16:17]
	;; [unrolled: 1-line block ×6, first 2 shown]
	s_movk_i32 s4, 0x5b
	v_cmp_gt_u32_e32 vcc, s4, v64
	v_add_f64 v[8:9], v[36:37], v[44:45]
	v_add_f64 v[10:11], v[46:47], -v[34:35]
	v_add_f64 v[12:13], v[24:25], v[28:29]
	v_add_f64 v[14:15], v[26:27], -v[42:43]
	v_add_f64 v[16:17], v[20:21], -v[40:41]
	v_add_f64 v[18:19], v[38:39], v[22:23]
	v_add_f64 v[20:21], v[40:41], v[20:21]
	v_add_f64 v[22:23], v[22:23], -v[38:39]
	v_add_f64 v[24:25], v[28:29], -v[24:25]
	v_add_f64 v[26:27], v[42:43], v[26:27]
	v_add_f64 v[28:29], v[44:45], -v[36:37]
	v_add_f64 v[30:31], v[34:35], v[46:47]
	ds_write_b128 v65, v[4:7]
	ds_write_b128 v65, v[8:11] offset:208
	ds_write_b128 v65, v[12:15] offset:416
	;; [unrolled: 1-line block ×6, first 2 shown]
	s_waitcnt lgkmcnt(0)
	s_barrier
	s_and_saveexec_b64 s[4:5], vcc
	s_cbranch_execz .LBB0_15
; %bb.14:
	ds_read_b128 v[4:7], v132
	ds_read_b128 v[8:11], v132 offset:1456
	ds_read_b128 v[12:15], v132 offset:2912
	;; [unrolled: 1-line block ×7, first 2 shown]
.LBB0_15:
	s_or_b64 exec, exec, s[4:5]
	s_waitcnt lgkmcnt(0)
	s_barrier
	s_and_saveexec_b64 s[4:5], vcc
	s_cbranch_execz .LBB0_17
; %bb.16:
	v_add_u32_e32 v32, 0xffffffa5, v64
	v_cndmask_b32_e32 v32, v32, v64, vcc
	v_mul_i32_i24_e32 v32, 7, v32
	v_mov_b32_e32 v33, 0
	v_lshlrev_b64 v[32:33], 4, v[32:33]
	v_mov_b32_e32 v34, s9
	v_add_co_u32_e32 v60, vcc, s8, v32
	v_addc_co_u32_e32 v61, vcc, v34, v33, vcc
	global_load_dwordx4 v[32:35], v[60:61], off offset:1296
	global_load_dwordx4 v[36:39], v[60:61], off offset:1264
	;; [unrolled: 1-line block ×7, first 2 shown]
	s_mov_b32 s6, 0x667f3bcd
	s_mov_b32 s7, 0x3fe6a09e
	;; [unrolled: 1-line block ×4, first 2 shown]
	s_waitcnt vmcnt(6)
	v_mul_f64 v[60:61], v[20:21], v[34:35]
	s_waitcnt vmcnt(5)
	v_mul_f64 v[62:63], v[14:15], v[38:39]
	;; [unrolled: 2-line block ×7, first 2 shown]
	v_mul_f64 v[46:47], v[10:11], v[46:47]
	v_mul_f64 v[50:51], v[26:27], v[50:51]
	v_mul_f64 v[54:55], v[16:17], v[54:55]
	v_mul_f64 v[58:59], v[0:1], v[58:59]
	v_mul_f64 v[38:39], v[12:13], v[38:39]
	v_mul_f64 v[42:43], v[28:29], v[42:43]
	v_mul_f64 v[34:35], v[22:23], v[34:35]
	v_fma_f64 v[22:23], v[22:23], v[32:33], -v[60:61]
	v_fma_f64 v[12:13], v[12:13], v[36:37], v[62:63]
	v_fma_f64 v[28:29], v[28:29], v[40:41], v[68:69]
	v_fma_f64 v[10:11], v[10:11], v[44:45], -v[70:71]
	v_fma_f64 v[26:27], v[26:27], v[48:49], -v[72:73]
	v_fma_f64 v[16:17], v[16:17], v[52:53], v[74:75]
	v_fma_f64 v[0:1], v[0:1], v[56:57], v[76:77]
	;; [unrolled: 1-line block ×4, first 2 shown]
	v_fma_f64 v[18:19], v[18:19], v[52:53], -v[54:55]
	v_fma_f64 v[14:15], v[14:15], v[36:37], -v[38:39]
	;; [unrolled: 1-line block ×4, first 2 shown]
	v_fma_f64 v[20:21], v[20:21], v[32:33], v[34:35]
	v_add_f64 v[22:23], v[6:7], -v[22:23]
	v_add_f64 v[28:29], v[12:13], -v[28:29]
	;; [unrolled: 1-line block ×8, first 2 shown]
	v_fma_f64 v[6:7], v[6:7], 2.0, -v[22:23]
	v_add_f64 v[32:33], v[22:23], -v[28:29]
	v_fma_f64 v[10:11], v[10:11], 2.0, -v[26:27]
	v_add_f64 v[34:35], v[26:27], -v[0:1]
	v_fma_f64 v[8:9], v[8:9], 2.0, -v[24:25]
	v_fma_f64 v[14:15], v[14:15], 2.0, -v[30:31]
	;; [unrolled: 1-line block ×6, first 2 shown]
	v_add_f64 v[2:3], v[24:25], v[2:3]
	v_add_f64 v[28:29], v[20:21], v[30:31]
	v_fma_f64 v[36:37], v[22:23], 2.0, -v[32:33]
	v_add_f64 v[30:31], v[6:7], -v[14:15]
	v_fma_f64 v[18:19], v[26:27], 2.0, -v[34:35]
	v_add_f64 v[0:1], v[8:9], -v[0:1]
	v_add_f64 v[14:15], v[10:11], -v[16:17]
	;; [unrolled: 1-line block ×3, first 2 shown]
	v_fma_f64 v[12:13], v[24:25], 2.0, -v[2:3]
	v_fma_f64 v[24:25], v[20:21], 2.0, -v[28:29]
	v_fma_f64 v[20:21], v[34:35], s[6:7], v[32:33]
	v_fma_f64 v[22:23], v[2:3], s[6:7], v[28:29]
	;; [unrolled: 1-line block ×3, first 2 shown]
	v_fma_f64 v[38:39], v[6:7], 2.0, -v[30:31]
	v_fma_f64 v[40:41], v[10:11], 2.0, -v[14:15]
	;; [unrolled: 1-line block ×4, first 2 shown]
	v_fma_f64 v[44:45], v[12:13], s[10:11], v[24:25]
	v_add_f64 v[6:7], v[30:31], -v[0:1]
	v_add_f64 v[4:5], v[16:17], v[14:15]
	v_fma_f64 v[2:3], v[2:3], s[10:11], v[20:21]
	v_fma_f64 v[0:1], v[34:35], s[6:7], v[22:23]
	;; [unrolled: 1-line block ×3, first 2 shown]
	v_add_f64 v[14:15], v[38:39], -v[40:41]
	v_add_f64 v[12:13], v[42:43], -v[8:9]
	v_fma_f64 v[8:9], v[18:19], s[6:7], v[44:45]
	v_fma_f64 v[22:23], v[30:31], 2.0, -v[6:7]
	v_fma_f64 v[20:21], v[16:17], 2.0, -v[4:5]
	;; [unrolled: 1-line block ×8, first 2 shown]
	ds_write_b128 v132, v[4:7] offset:8736
	ds_write_b128 v132, v[20:23] offset:2912
	;; [unrolled: 1-line block ×5, first 2 shown]
	ds_write_b128 v132, v[28:31]
	ds_write_b128 v132, v[24:27] offset:1456
	ds_write_b128 v132, v[0:3] offset:10192
.LBB0_17:
	s_or_b64 exec, exec, s[4:5]
	s_waitcnt lgkmcnt(0)
	s_barrier
	ds_read_b128 v[4:7], v132
	s_add_u32 s6, s8, 0x2cb0
	v_lshlrev_b32_e32 v0, 4, v64
	s_addc_u32 s7, s9, 0
	v_sub_u32_e32 v12, 0, v0
	v_cmp_ne_u32_e32 vcc, 0, v64
                                        ; implicit-def: $vgpr2_vgpr3
                                        ; implicit-def: $vgpr8_vgpr9
                                        ; implicit-def: $vgpr10_vgpr11
	s_and_saveexec_b64 s[4:5], vcc
	s_xor_b64 s[4:5], exec, s[4:5]
	s_cbranch_execz .LBB0_19
; %bb.18:
	v_mov_b32_e32 v65, 0
	v_lshlrev_b64 v[0:1], 4, v[64:65]
	v_mov_b32_e32 v2, s7
	v_add_co_u32_e32 v0, vcc, s6, v0
	v_addc_co_u32_e32 v1, vcc, v2, v1, vcc
	global_load_dwordx4 v[0:3], v[0:1], off
	ds_read_b128 v[8:11], v12 offset:11648
	s_waitcnt lgkmcnt(0)
	v_add_f64 v[13:14], v[4:5], -v[8:9]
	v_add_f64 v[15:16], v[6:7], v[10:11]
	v_add_f64 v[6:7], v[6:7], -v[10:11]
	v_add_f64 v[4:5], v[4:5], v[8:9]
	v_mul_f64 v[10:11], v[13:14], 0.5
	v_mul_f64 v[13:14], v[15:16], 0.5
	v_mul_f64 v[6:7], v[6:7], 0.5
	s_waitcnt vmcnt(0)
	v_mul_f64 v[8:9], v[10:11], v[2:3]
	v_fma_f64 v[15:16], v[13:14], v[2:3], v[6:7]
	v_fma_f64 v[2:3], v[13:14], v[2:3], -v[6:7]
	v_fma_f64 v[17:18], v[4:5], 0.5, v[8:9]
	v_fma_f64 v[4:5], v[4:5], 0.5, -v[8:9]
	v_fma_f64 v[8:9], -v[0:1], v[10:11], v[15:16]
	v_fma_f64 v[2:3], -v[0:1], v[10:11], v[2:3]
	v_mov_b32_e32 v10, v64
	v_mov_b32_e32 v11, v65
	v_fma_f64 v[6:7], v[13:14], v[0:1], v[17:18]
	v_fma_f64 v[0:1], -v[13:14], v[0:1], v[4:5]
                                        ; implicit-def: $vgpr4_vgpr5
	ds_write_b64 v132, v[6:7]
.LBB0_19:
	s_andn2_saveexec_b64 s[4:5], s[4:5]
	s_cbranch_execz .LBB0_21
; %bb.20:
	s_waitcnt lgkmcnt(0)
	v_add_f64 v[2:3], v[4:5], v[6:7]
	v_mov_b32_e32 v15, 0
	ds_read_b64 v[13:14], v15 offset:5832
	v_add_f64 v[0:1], v[4:5], -v[6:7]
	v_mov_b32_e32 v8, 0
	v_mov_b32_e32 v10, 0
	;; [unrolled: 1-line block ×3, first 2 shown]
	s_waitcnt lgkmcnt(0)
	v_xor_b32_e32 v14, 0x80000000, v14
	ds_write_b64 v15, v[13:14] offset:5832
	ds_write_b64 v132, v[2:3]
	v_mov_b32_e32 v2, v8
	v_mov_b32_e32 v11, 0
	;; [unrolled: 1-line block ×3, first 2 shown]
.LBB0_21:
	s_or_b64 exec, exec, s[4:5]
	s_waitcnt lgkmcnt(0)
	v_lshlrev_b64 v[4:5], 4, v[10:11]
	v_mov_b32_e32 v7, s7
	v_add_co_u32_e32 v6, vcc, s6, v4
	v_addc_co_u32_e32 v7, vcc, v7, v5, vcc
	global_load_dwordx4 v[13:16], v[6:7], off offset:1664
	global_load_dwordx4 v[17:20], v[6:7], off offset:3328
	ds_write_b64 v132, v[8:9] offset:8
	ds_write_b128 v12, v[0:3] offset:11648
	ds_read_b128 v[0:3], v132 offset:1664
	ds_read_b128 v[8:11], v12 offset:9984
	v_cmp_gt_u32_e32 vcc, 52, v64
	s_waitcnt lgkmcnt(0)
	v_add_f64 v[21:22], v[0:1], -v[8:9]
	v_add_f64 v[23:24], v[2:3], v[10:11]
	v_add_f64 v[2:3], v[2:3], -v[10:11]
	v_add_f64 v[0:1], v[0:1], v[8:9]
	v_mul_f64 v[10:11], v[21:22], 0.5
	v_mul_f64 v[21:22], v[23:24], 0.5
	;; [unrolled: 1-line block ×3, first 2 shown]
	s_waitcnt vmcnt(1)
	v_mul_f64 v[8:9], v[10:11], v[15:16]
	v_fma_f64 v[23:24], v[21:22], v[15:16], v[2:3]
	v_fma_f64 v[15:16], v[21:22], v[15:16], -v[2:3]
	v_fma_f64 v[25:26], v[0:1], 0.5, v[8:9]
	v_fma_f64 v[8:9], v[0:1], 0.5, -v[8:9]
	v_fma_f64 v[2:3], -v[13:14], v[10:11], v[23:24]
	v_fma_f64 v[10:11], -v[13:14], v[10:11], v[15:16]
	v_fma_f64 v[0:1], v[21:22], v[13:14], v[25:26]
	v_fma_f64 v[8:9], -v[21:22], v[13:14], v[8:9]
	ds_write_b128 v132, v[0:3] offset:1664
	ds_write_b128 v12, v[8:11] offset:9984
	ds_read_b128 v[0:3], v132 offset:3328
	ds_read_b128 v[8:11], v12 offset:8320
	s_waitcnt lgkmcnt(0)
	v_add_f64 v[13:14], v[0:1], -v[8:9]
	v_add_f64 v[15:16], v[2:3], v[10:11]
	v_add_f64 v[2:3], v[2:3], -v[10:11]
	v_add_f64 v[0:1], v[0:1], v[8:9]
	v_mul_f64 v[10:11], v[13:14], 0.5
	v_mul_f64 v[13:14], v[15:16], 0.5
	;; [unrolled: 1-line block ×3, first 2 shown]
	s_waitcnt vmcnt(0)
	v_mul_f64 v[8:9], v[10:11], v[19:20]
	v_fma_f64 v[15:16], v[13:14], v[19:20], v[2:3]
	v_fma_f64 v[19:20], v[13:14], v[19:20], -v[2:3]
	v_fma_f64 v[21:22], v[0:1], 0.5, v[8:9]
	v_fma_f64 v[8:9], v[0:1], 0.5, -v[8:9]
	v_fma_f64 v[2:3], -v[17:18], v[10:11], v[15:16]
	v_fma_f64 v[10:11], -v[17:18], v[10:11], v[19:20]
	v_fma_f64 v[0:1], v[13:14], v[17:18], v[21:22]
	v_fma_f64 v[8:9], -v[13:14], v[17:18], v[8:9]
	ds_write_b128 v132, v[0:3] offset:3328
	ds_write_b128 v12, v[8:11] offset:8320
	s_and_saveexec_b64 s[4:5], vcc
	s_cbranch_execz .LBB0_23
; %bb.22:
	s_movk_i32 s6, 0x1000
	v_add_co_u32_e32 v0, vcc, s6, v6
	v_addc_co_u32_e32 v1, vcc, 0, v7, vcc
	global_load_dwordx4 v[0:3], v[0:1], off offset:896
	ds_read_b128 v[6:9], v132 offset:4992
	ds_read_b128 v[13:16], v12 offset:6656
	s_waitcnt lgkmcnt(0)
	v_add_f64 v[10:11], v[6:7], -v[13:14]
	v_add_f64 v[17:18], v[8:9], v[15:16]
	v_add_f64 v[8:9], v[8:9], -v[15:16]
	v_add_f64 v[6:7], v[6:7], v[13:14]
	v_mul_f64 v[10:11], v[10:11], 0.5
	v_mul_f64 v[15:16], v[17:18], 0.5
	;; [unrolled: 1-line block ×3, first 2 shown]
	s_waitcnt vmcnt(0)
	v_mul_f64 v[13:14], v[10:11], v[2:3]
	v_fma_f64 v[17:18], v[15:16], v[2:3], v[8:9]
	v_fma_f64 v[2:3], v[15:16], v[2:3], -v[8:9]
	v_fma_f64 v[19:20], v[6:7], 0.5, v[13:14]
	v_fma_f64 v[13:14], v[6:7], 0.5, -v[13:14]
	v_fma_f64 v[8:9], -v[0:1], v[10:11], v[17:18]
	v_fma_f64 v[2:3], -v[0:1], v[10:11], v[2:3]
	v_fma_f64 v[6:7], v[15:16], v[0:1], v[19:20]
	v_fma_f64 v[0:1], -v[15:16], v[0:1], v[13:14]
	ds_write_b128 v132, v[6:9] offset:4992
	ds_write_b128 v12, v[0:3] offset:6656
.LBB0_23:
	s_or_b64 exec, exec, s[4:5]
	s_waitcnt lgkmcnt(0)
	s_barrier
	s_and_saveexec_b64 s[4:5], s[0:1]
	s_cbranch_execz .LBB0_26
; %bb.24:
	v_mov_b32_e32 v0, s3
	v_add_co_u32_e32 v1, vcc, s2, v66
	ds_read_b128 v[6:9], v132
	ds_read_b128 v[10:13], v132 offset:1664
	ds_read_b128 v[14:17], v132 offset:3328
	v_addc_co_u32_e32 v0, vcc, v0, v67, vcc
	v_add_co_u32_e32 v18, vcc, v1, v4
	v_addc_co_u32_e32 v19, vcc, v0, v5, vcc
	s_waitcnt lgkmcnt(2)
	global_store_dwordx4 v[18:19], v[6:9], off
	s_waitcnt lgkmcnt(1)
	global_store_dwordx4 v[18:19], v[10:13], off offset:1664
	ds_read_b128 v[2:5], v132 offset:4992
	ds_read_b128 v[6:9], v132 offset:6656
	v_add_co_u32_e32 v10, vcc, 0x1000, v18
	v_addc_co_u32_e32 v11, vcc, 0, v19, vcc
	s_waitcnt lgkmcnt(1)
	global_store_dwordx4 v[10:11], v[2:5], off offset:896
	ds_read_b128 v[2:5], v132 offset:8320
	s_waitcnt lgkmcnt(1)
	global_store_dwordx4 v[10:11], v[6:9], off offset:2560
	ds_read_b128 v[6:9], v132 offset:9984
	v_add_co_u32_e32 v10, vcc, 0x2000, v18
	v_addc_co_u32_e32 v11, vcc, 0, v19, vcc
	s_movk_i32 s0, 0x67
	v_cmp_eq_u32_e32 vcc, s0, v64
	global_store_dwordx4 v[18:19], v[14:17], off offset:3328
	s_waitcnt lgkmcnt(1)
	global_store_dwordx4 v[10:11], v[2:5], off offset:128
	s_waitcnt lgkmcnt(0)
	global_store_dwordx4 v[10:11], v[6:9], off offset:1792
	s_and_b64 exec, exec, vcc
	s_cbranch_execz .LBB0_26
; %bb.25:
	v_mov_b32_e32 v2, 0
	ds_read_b128 v[2:5], v2 offset:11648
	v_add_co_u32_e32 v6, vcc, 0x2000, v1
	v_addc_co_u32_e32 v7, vcc, 0, v0, vcc
	s_waitcnt lgkmcnt(0)
	global_store_dwordx4 v[6:7], v[2:5], off offset:3456
.LBB0_26:
	s_endpgm
	.section	.rodata,"a",@progbits
	.p2align	6, 0x0
	.amdhsa_kernel fft_rtc_back_len728_factors_13_7_8_wgs_104_tpt_104_halfLds_dp_ip_CI_unitstride_sbrr_R2C_dirReg
		.amdhsa_group_segment_fixed_size 0
		.amdhsa_private_segment_fixed_size 0
		.amdhsa_kernarg_size 88
		.amdhsa_user_sgpr_count 6
		.amdhsa_user_sgpr_private_segment_buffer 1
		.amdhsa_user_sgpr_dispatch_ptr 0
		.amdhsa_user_sgpr_queue_ptr 0
		.amdhsa_user_sgpr_kernarg_segment_ptr 1
		.amdhsa_user_sgpr_dispatch_id 0
		.amdhsa_user_sgpr_flat_scratch_init 0
		.amdhsa_user_sgpr_private_segment_size 0
		.amdhsa_uses_dynamic_stack 0
		.amdhsa_system_sgpr_private_segment_wavefront_offset 0
		.amdhsa_system_sgpr_workgroup_id_x 1
		.amdhsa_system_sgpr_workgroup_id_y 0
		.amdhsa_system_sgpr_workgroup_id_z 0
		.amdhsa_system_sgpr_workgroup_info 0
		.amdhsa_system_vgpr_workitem_id 0
		.amdhsa_next_free_vgpr 179
		.amdhsa_next_free_sgpr 42
		.amdhsa_reserve_vcc 1
		.amdhsa_reserve_flat_scratch 0
		.amdhsa_float_round_mode_32 0
		.amdhsa_float_round_mode_16_64 0
		.amdhsa_float_denorm_mode_32 3
		.amdhsa_float_denorm_mode_16_64 3
		.amdhsa_dx10_clamp 1
		.amdhsa_ieee_mode 1
		.amdhsa_fp16_overflow 0
		.amdhsa_exception_fp_ieee_invalid_op 0
		.amdhsa_exception_fp_denorm_src 0
		.amdhsa_exception_fp_ieee_div_zero 0
		.amdhsa_exception_fp_ieee_overflow 0
		.amdhsa_exception_fp_ieee_underflow 0
		.amdhsa_exception_fp_ieee_inexact 0
		.amdhsa_exception_int_div_zero 0
	.end_amdhsa_kernel
	.text
.Lfunc_end0:
	.size	fft_rtc_back_len728_factors_13_7_8_wgs_104_tpt_104_halfLds_dp_ip_CI_unitstride_sbrr_R2C_dirReg, .Lfunc_end0-fft_rtc_back_len728_factors_13_7_8_wgs_104_tpt_104_halfLds_dp_ip_CI_unitstride_sbrr_R2C_dirReg
                                        ; -- End function
	.section	.AMDGPU.csdata,"",@progbits
; Kernel info:
; codeLenInByte = 8604
; NumSgprs: 46
; NumVgprs: 179
; ScratchSize: 0
; MemoryBound: 0
; FloatMode: 240
; IeeeMode: 1
; LDSByteSize: 0 bytes/workgroup (compile time only)
; SGPRBlocks: 5
; VGPRBlocks: 44
; NumSGPRsForWavesPerEU: 46
; NumVGPRsForWavesPerEU: 179
; Occupancy: 1
; WaveLimiterHint : 1
; COMPUTE_PGM_RSRC2:SCRATCH_EN: 0
; COMPUTE_PGM_RSRC2:USER_SGPR: 6
; COMPUTE_PGM_RSRC2:TRAP_HANDLER: 0
; COMPUTE_PGM_RSRC2:TGID_X_EN: 1
; COMPUTE_PGM_RSRC2:TGID_Y_EN: 0
; COMPUTE_PGM_RSRC2:TGID_Z_EN: 0
; COMPUTE_PGM_RSRC2:TIDIG_COMP_CNT: 0
	.type	__hip_cuid_3e93a55e1dce0210,@object ; @__hip_cuid_3e93a55e1dce0210
	.section	.bss,"aw",@nobits
	.globl	__hip_cuid_3e93a55e1dce0210
__hip_cuid_3e93a55e1dce0210:
	.byte	0                               ; 0x0
	.size	__hip_cuid_3e93a55e1dce0210, 1

	.ident	"AMD clang version 19.0.0git (https://github.com/RadeonOpenCompute/llvm-project roc-6.4.0 25133 c7fe45cf4b819c5991fe208aaa96edf142730f1d)"
	.section	".note.GNU-stack","",@progbits
	.addrsig
	.addrsig_sym __hip_cuid_3e93a55e1dce0210
	.amdgpu_metadata
---
amdhsa.kernels:
  - .args:
      - .actual_access:  read_only
        .address_space:  global
        .offset:         0
        .size:           8
        .value_kind:     global_buffer
      - .offset:         8
        .size:           8
        .value_kind:     by_value
      - .actual_access:  read_only
        .address_space:  global
        .offset:         16
        .size:           8
        .value_kind:     global_buffer
      - .actual_access:  read_only
        .address_space:  global
        .offset:         24
        .size:           8
        .value_kind:     global_buffer
      - .offset:         32
        .size:           8
        .value_kind:     by_value
      - .actual_access:  read_only
        .address_space:  global
        .offset:         40
        .size:           8
        .value_kind:     global_buffer
      - .actual_access:  read_only
        .address_space:  global
        .offset:         48
        .size:           8
        .value_kind:     global_buffer
      - .offset:         56
        .size:           4
        .value_kind:     by_value
      - .actual_access:  read_only
        .address_space:  global
        .offset:         64
        .size:           8
        .value_kind:     global_buffer
      - .actual_access:  read_only
        .address_space:  global
        .offset:         72
        .size:           8
        .value_kind:     global_buffer
      - .address_space:  global
        .offset:         80
        .size:           8
        .value_kind:     global_buffer
    .group_segment_fixed_size: 0
    .kernarg_segment_align: 8
    .kernarg_segment_size: 88
    .language:       OpenCL C
    .language_version:
      - 2
      - 0
    .max_flat_workgroup_size: 104
    .name:           fft_rtc_back_len728_factors_13_7_8_wgs_104_tpt_104_halfLds_dp_ip_CI_unitstride_sbrr_R2C_dirReg
    .private_segment_fixed_size: 0
    .sgpr_count:     46
    .sgpr_spill_count: 0
    .symbol:         fft_rtc_back_len728_factors_13_7_8_wgs_104_tpt_104_halfLds_dp_ip_CI_unitstride_sbrr_R2C_dirReg.kd
    .uniform_work_group_size: 1
    .uses_dynamic_stack: false
    .vgpr_count:     179
    .vgpr_spill_count: 0
    .wavefront_size: 64
amdhsa.target:   amdgcn-amd-amdhsa--gfx906
amdhsa.version:
  - 1
  - 2
...

	.end_amdgpu_metadata
